;; amdgpu-corpus repo=ROCm/rocFFT kind=compiled arch=gfx1030 opt=O3
	.text
	.amdgcn_target "amdgcn-amd-amdhsa--gfx1030"
	.amdhsa_code_object_version 6
	.protected	fft_rtc_back_len99_factors_3_3_11_wgs_220_tpt_11_dp_ip_CI_unitstride_sbrr_dirReg ; -- Begin function fft_rtc_back_len99_factors_3_3_11_wgs_220_tpt_11_dp_ip_CI_unitstride_sbrr_dirReg
	.globl	fft_rtc_back_len99_factors_3_3_11_wgs_220_tpt_11_dp_ip_CI_unitstride_sbrr_dirReg
	.p2align	8
	.type	fft_rtc_back_len99_factors_3_3_11_wgs_220_tpt_11_dp_ip_CI_unitstride_sbrr_dirReg,@function
fft_rtc_back_len99_factors_3_3_11_wgs_220_tpt_11_dp_ip_CI_unitstride_sbrr_dirReg: ; @fft_rtc_back_len99_factors_3_3_11_wgs_220_tpt_11_dp_ip_CI_unitstride_sbrr_dirReg
; %bb.0:
	s_load_dwordx4 s[8:11], s[4:5], 0x0
	v_mul_u32_u24_e32 v1, 0x1746, v0
	s_clause 0x1
	s_load_dwordx2 s[2:3], s[4:5], 0x50
	s_load_dwordx2 s[12:13], s[4:5], 0x18
	v_lshrrev_b32_e32 v2, 16, v1
	v_mov_b32_e32 v1, 0
	v_mad_u64_u32 v[36:37], null, s6, 20, v[2:3]
	v_mov_b32_e32 v37, v1
	v_mov_b32_e32 v3, 0
	;; [unrolled: 1-line block ×4, first 2 shown]
	s_waitcnt lgkmcnt(0)
	v_cmp_lt_u64_e64 s0, s[10:11], 2
	v_mov_b32_e32 v8, v37
	s_and_b32 vcc_lo, exec_lo, s0
	s_cbranch_vccnz .LBB0_8
; %bb.1:
	s_load_dwordx2 s[0:1], s[4:5], 0x10
	v_mov_b32_e32 v3, 0
	v_mov_b32_e32 v5, v36
	s_add_u32 s6, s12, 8
	v_mov_b32_e32 v4, 0
	v_mov_b32_e32 v6, v37
	s_addc_u32 s7, s13, 0
	s_mov_b64 s[16:17], 1
	s_waitcnt lgkmcnt(0)
	s_add_u32 s14, s0, 8
	s_addc_u32 s15, s1, 0
.LBB0_2:                                ; =>This Inner Loop Header: Depth=1
	s_load_dwordx2 s[18:19], s[14:15], 0x0
                                        ; implicit-def: $vgpr7_vgpr8
	s_mov_b32 s0, exec_lo
	s_waitcnt lgkmcnt(0)
	v_or_b32_e32 v2, s19, v6
	v_cmpx_ne_u64_e32 0, v[1:2]
	s_xor_b32 s1, exec_lo, s0
	s_cbranch_execz .LBB0_4
; %bb.3:                                ;   in Loop: Header=BB0_2 Depth=1
	v_cvt_f32_u32_e32 v2, s18
	v_cvt_f32_u32_e32 v7, s19
	s_sub_u32 s0, 0, s18
	s_subb_u32 s20, 0, s19
	v_fmac_f32_e32 v2, 0x4f800000, v7
	v_rcp_f32_e32 v2, v2
	v_mul_f32_e32 v2, 0x5f7ffffc, v2
	v_mul_f32_e32 v7, 0x2f800000, v2
	v_trunc_f32_e32 v7, v7
	v_fmac_f32_e32 v2, 0xcf800000, v7
	v_cvt_u32_f32_e32 v7, v7
	v_cvt_u32_f32_e32 v2, v2
	v_mul_lo_u32 v8, s0, v7
	v_mul_hi_u32 v9, s0, v2
	v_mul_lo_u32 v10, s20, v2
	v_add_nc_u32_e32 v8, v9, v8
	v_mul_lo_u32 v9, s0, v2
	v_add_nc_u32_e32 v8, v8, v10
	v_mul_hi_u32 v10, v2, v9
	v_mul_lo_u32 v11, v2, v8
	v_mul_hi_u32 v12, v2, v8
	v_mul_hi_u32 v13, v7, v9
	v_mul_lo_u32 v9, v7, v9
	v_mul_hi_u32 v14, v7, v8
	v_mul_lo_u32 v8, v7, v8
	v_add_co_u32 v10, vcc_lo, v10, v11
	v_add_co_ci_u32_e32 v11, vcc_lo, 0, v12, vcc_lo
	v_add_co_u32 v9, vcc_lo, v10, v9
	v_add_co_ci_u32_e32 v9, vcc_lo, v11, v13, vcc_lo
	v_add_co_ci_u32_e32 v10, vcc_lo, 0, v14, vcc_lo
	v_add_co_u32 v8, vcc_lo, v9, v8
	v_add_co_ci_u32_e32 v9, vcc_lo, 0, v10, vcc_lo
	v_add_co_u32 v2, vcc_lo, v2, v8
	v_add_co_ci_u32_e32 v7, vcc_lo, v7, v9, vcc_lo
	v_mul_hi_u32 v8, s0, v2
	v_mul_lo_u32 v10, s20, v2
	v_mul_lo_u32 v9, s0, v7
	v_add_nc_u32_e32 v8, v8, v9
	v_mul_lo_u32 v9, s0, v2
	v_add_nc_u32_e32 v8, v8, v10
	v_mul_hi_u32 v10, v2, v9
	v_mul_lo_u32 v11, v2, v8
	v_mul_hi_u32 v12, v2, v8
	v_mul_hi_u32 v13, v7, v9
	v_mul_lo_u32 v9, v7, v9
	v_mul_hi_u32 v14, v7, v8
	v_mul_lo_u32 v8, v7, v8
	v_add_co_u32 v10, vcc_lo, v10, v11
	v_add_co_ci_u32_e32 v11, vcc_lo, 0, v12, vcc_lo
	v_add_co_u32 v9, vcc_lo, v10, v9
	v_add_co_ci_u32_e32 v9, vcc_lo, v11, v13, vcc_lo
	v_add_co_ci_u32_e32 v10, vcc_lo, 0, v14, vcc_lo
	v_add_co_u32 v8, vcc_lo, v9, v8
	v_add_co_ci_u32_e32 v9, vcc_lo, 0, v10, vcc_lo
	v_add_co_u32 v2, vcc_lo, v2, v8
	v_add_co_ci_u32_e32 v11, vcc_lo, v7, v9, vcc_lo
	v_mul_hi_u32 v13, v5, v2
	v_mad_u64_u32 v[9:10], null, v6, v2, 0
	v_mad_u64_u32 v[7:8], null, v5, v11, 0
	v_mad_u64_u32 v[11:12], null, v6, v11, 0
	v_add_co_u32 v2, vcc_lo, v13, v7
	v_add_co_ci_u32_e32 v7, vcc_lo, 0, v8, vcc_lo
	v_add_co_u32 v2, vcc_lo, v2, v9
	v_add_co_ci_u32_e32 v2, vcc_lo, v7, v10, vcc_lo
	v_add_co_ci_u32_e32 v7, vcc_lo, 0, v12, vcc_lo
	v_add_co_u32 v2, vcc_lo, v2, v11
	v_add_co_ci_u32_e32 v9, vcc_lo, 0, v7, vcc_lo
	v_mul_lo_u32 v10, s19, v2
	v_mad_u64_u32 v[7:8], null, s18, v2, 0
	v_mul_lo_u32 v11, s18, v9
	v_sub_co_u32 v7, vcc_lo, v5, v7
	v_add3_u32 v8, v8, v11, v10
	v_sub_nc_u32_e32 v10, v6, v8
	v_subrev_co_ci_u32_e64 v10, s0, s19, v10, vcc_lo
	v_add_co_u32 v11, s0, v2, 2
	v_add_co_ci_u32_e64 v12, s0, 0, v9, s0
	v_sub_co_u32 v13, s0, v7, s18
	v_sub_co_ci_u32_e32 v8, vcc_lo, v6, v8, vcc_lo
	v_subrev_co_ci_u32_e64 v10, s0, 0, v10, s0
	v_cmp_le_u32_e32 vcc_lo, s18, v13
	v_cmp_eq_u32_e64 s0, s19, v8
	v_cndmask_b32_e64 v13, 0, -1, vcc_lo
	v_cmp_le_u32_e32 vcc_lo, s19, v10
	v_cndmask_b32_e64 v14, 0, -1, vcc_lo
	v_cmp_le_u32_e32 vcc_lo, s18, v7
	;; [unrolled: 2-line block ×3, first 2 shown]
	v_cndmask_b32_e64 v15, 0, -1, vcc_lo
	v_cmp_eq_u32_e32 vcc_lo, s19, v10
	v_cndmask_b32_e64 v7, v15, v7, s0
	v_cndmask_b32_e32 v10, v14, v13, vcc_lo
	v_add_co_u32 v13, vcc_lo, v2, 1
	v_add_co_ci_u32_e32 v14, vcc_lo, 0, v9, vcc_lo
	v_cmp_ne_u32_e32 vcc_lo, 0, v10
	v_cndmask_b32_e32 v8, v14, v12, vcc_lo
	v_cndmask_b32_e32 v10, v13, v11, vcc_lo
	v_cmp_ne_u32_e32 vcc_lo, 0, v7
	v_cndmask_b32_e32 v8, v9, v8, vcc_lo
	v_cndmask_b32_e32 v7, v2, v10, vcc_lo
.LBB0_4:                                ;   in Loop: Header=BB0_2 Depth=1
	s_andn2_saveexec_b32 s0, s1
	s_cbranch_execz .LBB0_6
; %bb.5:                                ;   in Loop: Header=BB0_2 Depth=1
	v_cvt_f32_u32_e32 v2, s18
	s_sub_i32 s1, 0, s18
	v_rcp_iflag_f32_e32 v2, v2
	v_mul_f32_e32 v2, 0x4f7ffffe, v2
	v_cvt_u32_f32_e32 v2, v2
	v_mul_lo_u32 v7, s1, v2
	v_mul_hi_u32 v7, v2, v7
	v_add_nc_u32_e32 v2, v2, v7
	v_mul_hi_u32 v2, v5, v2
	v_mul_lo_u32 v7, v2, s18
	v_add_nc_u32_e32 v8, 1, v2
	v_sub_nc_u32_e32 v7, v5, v7
	v_subrev_nc_u32_e32 v9, s18, v7
	v_cmp_le_u32_e32 vcc_lo, s18, v7
	v_cndmask_b32_e32 v7, v7, v9, vcc_lo
	v_cndmask_b32_e32 v2, v2, v8, vcc_lo
	v_cmp_le_u32_e32 vcc_lo, s18, v7
	v_add_nc_u32_e32 v8, 1, v2
	v_cndmask_b32_e32 v7, v2, v8, vcc_lo
	v_mov_b32_e32 v8, v1
.LBB0_6:                                ;   in Loop: Header=BB0_2 Depth=1
	s_or_b32 exec_lo, exec_lo, s0
	s_load_dwordx2 s[0:1], s[6:7], 0x0
	v_mul_lo_u32 v2, v8, s18
	v_mul_lo_u32 v11, v7, s19
	v_mad_u64_u32 v[9:10], null, v7, s18, 0
	s_add_u32 s16, s16, 1
	s_addc_u32 s17, s17, 0
	s_add_u32 s6, s6, 8
	s_addc_u32 s7, s7, 0
	;; [unrolled: 2-line block ×3, first 2 shown]
	v_add3_u32 v2, v10, v11, v2
	v_sub_co_u32 v5, vcc_lo, v5, v9
	v_sub_co_ci_u32_e32 v2, vcc_lo, v6, v2, vcc_lo
	s_waitcnt lgkmcnt(0)
	v_mul_lo_u32 v6, s1, v5
	v_mul_lo_u32 v2, s0, v2
	v_mad_u64_u32 v[3:4], null, s0, v5, v[3:4]
	v_cmp_ge_u64_e64 s0, s[16:17], s[10:11]
	s_and_b32 vcc_lo, exec_lo, s0
	v_add3_u32 v4, v6, v4, v2
	s_cbranch_vccnz .LBB0_8
; %bb.7:                                ;   in Loop: Header=BB0_2 Depth=1
	v_mov_b32_e32 v5, v7
	v_mov_b32_e32 v6, v8
	s_branch .LBB0_2
.LBB0_8:
	s_lshl_b64 s[0:1], s[10:11], 3
                                        ; implicit-def: $vgpr10_vgpr11
                                        ; implicit-def: $vgpr26_vgpr27
                                        ; implicit-def: $vgpr22_vgpr23
                                        ; implicit-def: $vgpr34_vgpr35
                                        ; implicit-def: $vgpr18_vgpr19
                                        ; implicit-def: $vgpr30_vgpr31
                                        ; implicit-def: $vgpr14_vgpr15
	s_add_u32 s0, s12, s0
	s_addc_u32 s1, s13, s1
	s_load_dwordx2 s[0:1], s[0:1], 0x0
	s_load_dwordx2 s[4:5], s[4:5], 0x20
	s_waitcnt lgkmcnt(0)
	v_mul_lo_u32 v5, s0, v8
	v_mul_lo_u32 v6, s1, v7
	v_mad_u64_u32 v[1:2], null, s0, v7, v[3:4]
	v_mul_hi_u32 v3, 0x1745d175, v0
	v_cmp_gt_u64_e32 vcc_lo, s[4:5], v[7:8]
	v_add3_u32 v2, v6, v2, v5
                                        ; implicit-def: $vgpr6_vgpr7
	v_mul_u32_u24_e32 v3, 11, v3
	v_lshlrev_b64 v[44:45], 4, v[1:2]
	v_sub_nc_u32_e32 v46, v0, v3
                                        ; implicit-def: $vgpr2_vgpr3
	s_and_saveexec_b32 s1, vcc_lo
; %bb.9:
	v_mov_b32_e32 v47, 0
	v_add_co_u32 v2, s0, s2, v44
	v_add_co_ci_u32_e64 v3, s0, s3, v45, s0
	v_lshlrev_b64 v[0:1], 4, v[46:47]
	v_add_co_u32 v8, s0, v2, v0
	v_add_co_ci_u32_e64 v9, s0, v3, v1, s0
	s_clause 0x8
	global_load_dwordx4 v[12:15], v[8:9], off
	global_load_dwordx4 v[16:19], v[8:9], off offset:176
	global_load_dwordx4 v[0:3], v[8:9], off offset:1056
	;; [unrolled: 1-line block ×8, first 2 shown]
; %bb.10:
	s_or_b32 exec_lo, exec_lo, s1
	s_waitcnt vmcnt(4)
	v_add_f64 v[37:38], v[0:1], v[28:29]
	v_add_f64 v[39:40], v[2:3], v[30:31]
	v_mul_hi_u32 v43, 0xcccccccd, v36
	v_add_f64 v[49:50], v[28:29], v[12:13]
	v_add_f64 v[55:56], v[30:31], -v[2:3]
	v_add_f64 v[30:31], v[30:31], v[14:15]
	s_waitcnt vmcnt(2)
	v_add_f64 v[41:42], v[4:5], v[32:33]
	v_add_f64 v[47:48], v[6:7], v[34:35]
	s_waitcnt vmcnt(0)
	v_add_f64 v[51:52], v[8:9], v[24:25]
	v_add_f64 v[53:54], v[10:11], v[26:27]
	v_add_f64 v[59:60], v[34:35], -v[6:7]
	v_add_f64 v[34:35], v[34:35], v[18:19]
	v_add_f64 v[28:29], v[28:29], -v[0:1]
	v_add_f64 v[57:58], v[32:33], v[16:17]
	v_add_f64 v[61:62], v[24:25], v[20:21]
	v_add_f64 v[63:64], v[26:27], -v[10:11]
	v_add_f64 v[26:27], v[26:27], v[22:23]
	v_add_f64 v[32:33], v[32:33], -v[4:5]
	v_add_f64 v[65:66], v[24:25], -v[8:9]
	s_mov_b32 s0, 0xe8584caa
	s_mov_b32 s1, 0xbfebb67a
	;; [unrolled: 1-line block ×3, first 2 shown]
	v_fma_f64 v[37:38], v[37:38], -0.5, v[12:13]
	v_lshrrev_b32_e32 v12, 4, v43
	v_fma_f64 v[39:40], v[39:40], -0.5, v[14:15]
	v_add_f64 v[0:1], v[0:1], v[49:50]
	v_and_b32_e32 v43, 0xff, v46
	v_add_f64 v[2:3], v[2:3], v[30:31]
	v_mul_lo_u32 v12, v12, 20
	v_fma_f64 v[41:42], v[41:42], -0.5, v[16:17]
	v_fma_f64 v[47:48], v[47:48], -0.5, v[18:19]
	;; [unrolled: 1-line block ×4, first 2 shown]
	v_add_f64 v[6:7], v[6:7], v[34:35]
	v_mul_lo_u16 v34, 0xab, v43
	s_mov_b32 s4, s0
	v_sub_nc_u32_e32 v12, v36, v12
	v_add_nc_u16 v36, v46, 11
	v_add_f64 v[4:5], v[4:5], v[57:58]
	v_add_f64 v[8:9], v[8:9], v[61:62]
	v_add_f64 v[10:11], v[10:11], v[26:27]
	v_mul_u32_u24_e32 v30, 0x63, v12
	v_lshrrev_b16 v69, 9, v34
	v_fma_f64 v[12:13], v[55:56], s[0:1], v[37:38]
	v_fma_f64 v[16:17], v[55:56], s[4:5], v[37:38]
	v_lshlrev_b32_e32 v43, 4, v30
	v_fma_f64 v[14:15], v[28:29], s[4:5], v[39:40]
	v_fma_f64 v[18:19], v[28:29], s[0:1], v[39:40]
	v_add_nc_u16 v39, v46, 22
	v_and_b32_e32 v40, 0xff, v36
	v_add_nc_u32_e32 v70, 0, v43
	v_fma_f64 v[20:21], v[59:60], s[0:1], v[41:42]
	v_fma_f64 v[22:23], v[32:33], s[4:5], v[47:48]
	;; [unrolled: 1-line block ×4, first 2 shown]
	v_mad_u32_u24 v38, v46, 48, v70
	v_fma_f64 v[28:29], v[63:64], s[0:1], v[51:52]
	v_fma_f64 v[30:31], v[65:66], s[4:5], v[53:54]
	;; [unrolled: 1-line block ×4, first 2 shown]
	ds_write_b128 v38, v[0:3]
	v_and_b32_e32 v0, 0xff, v39
	v_mul_lo_u16 v1, 0xab, v40
	v_mul_lo_u16 v37, v69, 3
	v_mov_b32_e32 v41, 5
	ds_write_b128 v38, v[4:7] offset:528
	ds_write_b128 v38, v[8:11] offset:1056
	;; [unrolled: 1-line block ×3, first 2 shown]
	v_mul_lo_u16 v0, 0xab, v0
	v_lshrrev_b16 v76, 9, v1
	v_sub_nc_u16 v75, v46, v37
	ds_write_b128 v38, v[16:19] offset:32
	ds_write_b128 v38, v[20:23] offset:544
	;; [unrolled: 1-line block ×3, first 2 shown]
	v_lshrrev_b16 v77, 9, v0
	v_mul_lo_u16 v0, v76, 3
	v_lshlrev_b32_sdwa v4, v41, v75 dst_sel:DWORD dst_unused:UNUSED_PAD src0_sel:DWORD src1_sel:BYTE_0
	v_lshlrev_b32_e32 v24, 5, v46
	ds_write_b128 v38, v[28:31] offset:1072
	v_mul_lo_u16 v1, v77, 3
	v_sub_nc_u16 v78, v36, v0
	ds_write_b128 v38, v[32:35] offset:1088
	s_waitcnt lgkmcnt(0)
	s_barrier
	v_sub_nc_u16 v79, v39, v1
	v_lshlrev_b32_sdwa v12, v41, v78 dst_sel:DWORD dst_unused:UNUSED_PAD src0_sel:DWORD src1_sel:BYTE_0
	buffer_gl0_inv
	s_clause 0x1
	global_load_dwordx4 v[0:3], v4, s[8:9]
	global_load_dwordx4 v[4:7], v4, s[8:9] offset:16
	v_sub_nc_u32_e32 v40, v38, v24
	v_lshlrev_b32_sdwa v20, v41, v79 dst_sel:DWORD dst_unused:UNUSED_PAD src0_sel:DWORD src1_sel:BYTE_0
	s_clause 0x3
	global_load_dwordx4 v[8:11], v12, s[8:9]
	global_load_dwordx4 v[12:15], v12, s[8:9] offset:16
	global_load_dwordx4 v[16:19], v20, s[8:9]
	global_load_dwordx4 v[20:23], v20, s[8:9] offset:16
	ds_read_b128 v[24:27], v40 offset:528
	ds_read_b128 v[28:31], v40 offset:1056
	;; [unrolled: 1-line block ×7, first 2 shown]
	s_waitcnt vmcnt(5) lgkmcnt(6)
	v_mul_f64 v[41:42], v[26:27], v[2:3]
	s_waitcnt vmcnt(4) lgkmcnt(5)
	v_mul_f64 v[59:60], v[30:31], v[6:7]
	v_mul_f64 v[2:3], v[24:25], v[2:3]
	v_mul_f64 v[6:7], v[28:29], v[6:7]
	s_waitcnt vmcnt(3) lgkmcnt(4)
	v_mul_f64 v[61:62], v[34:35], v[10:11]
	s_waitcnt vmcnt(2) lgkmcnt(3)
	v_mul_f64 v[63:64], v[38:39], v[14:15]
	v_mul_f64 v[10:11], v[32:33], v[10:11]
	v_mul_f64 v[14:15], v[36:37], v[14:15]
	;; [unrolled: 6-line block ×3, first 2 shown]
	v_fma_f64 v[24:25], v[24:25], v[0:1], v[41:42]
	v_fma_f64 v[28:29], v[28:29], v[4:5], v[59:60]
	v_fma_f64 v[26:27], v[26:27], v[0:1], -v[2:3]
	v_fma_f64 v[30:31], v[30:31], v[4:5], -v[6:7]
	v_fma_f64 v[32:33], v[32:33], v[8:9], v[61:62]
	v_fma_f64 v[41:42], v[36:37], v[12:13], v[63:64]
	v_fma_f64 v[8:9], v[34:35], v[8:9], -v[10:11]
	v_fma_f64 v[10:11], v[38:39], v[12:13], -v[14:15]
	;; [unrolled: 4-line block ×3, first 2 shown]
	v_lshl_add_u32 v36, v46, 4, v70
	ds_read_b128 v[0:3], v36
	ds_read_b128 v[4:7], v40 offset:176
	v_and_b32_e32 v39, 0xffff, v69
	s_waitcnt lgkmcnt(0)
	s_barrier
	buffer_gl0_inv
	v_add_f64 v[18:19], v[24:25], v[28:29]
	v_add_f64 v[69:70], v[24:25], -v[28:29]
	v_add_f64 v[20:21], v[26:27], v[30:31]
	v_add_f64 v[67:68], v[26:27], -v[30:31]
	v_add_f64 v[22:23], v[32:33], v[41:42]
	v_mad_u32_u24 v39, 0x90, v39, 0
	v_add_f64 v[37:38], v[8:9], v[10:11]
	v_add_f64 v[63:64], v[55:56], v[12:13]
	;; [unrolled: 1-line block ×5, first 2 shown]
	v_add_f64 v[71:72], v[8:9], -v[10:11]
	v_add_f64 v[73:74], v[14:15], -v[16:17]
	v_add_f64 v[51:52], v[0:1], v[24:25]
	v_add_f64 v[53:54], v[2:3], v[26:27]
	;; [unrolled: 1-line block ×4, first 2 shown]
	v_add_f64 v[32:33], v[32:33], -v[41:42]
	v_fma_f64 v[18:19], v[18:19], -0.5, v[0:1]
	v_fma_f64 v[20:21], v[20:21], -0.5, v[2:3]
	;; [unrolled: 1-line block ×4, first 2 shown]
	v_add_f64 v[24:25], v[63:64], v[34:35]
	v_fma_f64 v[47:48], v[47:48], -0.5, v[55:56]
	v_add_f64 v[55:56], v[12:13], -v[34:35]
	v_fma_f64 v[49:50], v[49:50], -0.5, v[57:58]
	v_add_f64 v[26:27], v[65:66], v[16:17]
	v_mov_b32_e32 v57, 4
	v_add_f64 v[0:1], v[51:52], v[28:29]
	v_add_f64 v[2:3], v[53:54], v[30:31]
	;; [unrolled: 1-line block ×4, first 2 shown]
	v_and_b32_e32 v58, 0xffff, v76
	v_and_b32_e32 v76, 0xffff, v77
	v_lshlrev_b32_sdwa v42, v57, v78 dst_sel:DWORD dst_unused:UNUSED_PAD src0_sel:DWORD src1_sel:BYTE_0
	v_fma_f64 v[4:5], v[67:68], s[0:1], v[18:19]
	v_fma_f64 v[8:9], v[67:68], s[4:5], v[18:19]
	;; [unrolled: 1-line block ×12, first 2 shown]
	v_lshlrev_b32_sdwa v37, v57, v75 dst_sel:DWORD dst_unused:UNUSED_PAD src0_sel:DWORD src1_sel:BYTE_0
	v_mad_u32_u24 v38, 0x90, v58, 0
	v_mad_u32_u24 v41, 0x90, v76, 0
	v_lshlrev_b32_sdwa v47, v57, v79 dst_sel:DWORD dst_unused:UNUSED_PAD src0_sel:DWORD src1_sel:BYTE_0
	v_cmp_gt_u32_e64 s0, 9, v46
	v_add3_u32 v37, v39, v37, v43
	v_add3_u32 v38, v38, v42, v43
	;; [unrolled: 1-line block ×3, first 2 shown]
	ds_write_b128 v37, v[0:3]
	ds_write_b128 v37, v[4:7] offset:48
	ds_write_b128 v37, v[8:11] offset:96
	ds_write_b128 v38, v[12:15]
	ds_write_b128 v38, v[16:19] offset:48
	ds_write_b128 v38, v[20:23] offset:96
	;; [unrolled: 3-line block ×3, first 2 shown]
	s_waitcnt lgkmcnt(0)
	s_barrier
	buffer_gl0_inv
                                        ; implicit-def: $vgpr42_vgpr43
                                        ; implicit-def: $vgpr38_vgpr39
	s_and_saveexec_b32 s1, s0
	s_cbranch_execnz .LBB0_13
; %bb.11:
	s_or_b32 exec_lo, exec_lo, s1
	s_and_b32 s0, vcc_lo, s0
	s_and_saveexec_b32 s1, s0
	s_cbranch_execnz .LBB0_14
.LBB0_12:
	s_endpgm
.LBB0_13:
	ds_read_b128 v[0:3], v36
	ds_read_b128 v[4:7], v40 offset:144
	ds_read_b128 v[8:11], v40 offset:288
	ds_read_b128 v[12:15], v40 offset:432
	ds_read_b128 v[16:19], v40 offset:576
	ds_read_b128 v[20:23], v40 offset:720
	ds_read_b128 v[24:27], v40 offset:864
	ds_read_b128 v[28:31], v40 offset:1008
	ds_read_b128 v[32:35], v40 offset:1152
	ds_read_b128 v[36:39], v40 offset:1296
	ds_read_b128 v[40:43], v40 offset:1440
	s_or_b32 exec_lo, exec_lo, s1
	s_and_b32 s0, vcc_lo, s0
	s_and_saveexec_b32 s1, s0
	s_cbranch_execz .LBB0_12
.LBB0_14:
	v_mul_u32_u24_e32 v47, 10, v46
	s_mov_b32 s16, 0xbb3a28a1
	s_mov_b32 s18, 0xf8bb580b
	;; [unrolled: 1-line block ×4, first 2 shown]
	v_lshlrev_b32_e32 v47, 4, v47
	s_mov_b32 s17, 0xbfe82f19
	s_mov_b32 s19, 0x3fe14ced
	;; [unrolled: 1-line block ×4, first 2 shown]
	s_clause 0x9
	global_load_dwordx4 v[50:53], v47, s[8:9] offset:160
	global_load_dwordx4 v[54:57], v47, s[8:9] offset:176
	;; [unrolled: 1-line block ×10, first 2 shown]
	s_mov_b32 s22, s18
	s_mov_b32 s15, 0xbfefac9e
	;; [unrolled: 1-line block ×18, first 2 shown]
	v_add_co_u32 v44, vcc_lo, s2, v44
	v_add_co_ci_u32_e32 v45, vcc_lo, s3, v45, vcc_lo
	s_waitcnt vmcnt(9) lgkmcnt(5)
	v_mul_f64 v[47:48], v[22:23], v[52:53]
	v_mul_f64 v[52:53], v[20:21], v[52:53]
	s_waitcnt vmcnt(8) lgkmcnt(4)
	v_mul_f64 v[90:91], v[26:27], v[56:57]
	v_mul_f64 v[56:57], v[24:25], v[56:57]
	s_waitcnt vmcnt(7)
	v_mul_f64 v[92:93], v[18:19], v[60:61]
	v_mul_f64 v[60:61], v[16:17], v[60:61]
	s_waitcnt vmcnt(3)
	v_mul_f64 v[100:101], v[6:7], v[76:77]
	v_mul_f64 v[76:77], v[4:5], v[76:77]
	s_waitcnt vmcnt(2) lgkmcnt(0)
	v_mul_f64 v[102:103], v[42:43], v[80:81]
	v_mul_f64 v[80:81], v[40:41], v[80:81]
	;; [unrolled: 1-line block ×8, first 2 shown]
	s_waitcnt vmcnt(1)
	v_mul_f64 v[104:105], v[10:11], v[84:85]
	v_mul_f64 v[84:85], v[8:9], v[84:85]
	s_waitcnt vmcnt(0)
	v_mul_f64 v[106:107], v[38:39], v[88:89]
	v_mul_f64 v[88:89], v[36:37], v[88:89]
	v_fma_f64 v[48:49], v[20:21], v[50:51], v[47:48]
	v_fma_f64 v[50:51], v[22:23], v[50:51], -v[52:53]
	v_fma_f64 v[20:21], v[24:25], v[54:55], v[90:91]
	v_fma_f64 v[22:23], v[26:27], v[54:55], -v[56:57]
	;; [unrolled: 2-line block ×10, first 2 shown]
	v_mov_b32_e32 v47, 0
	v_add_f64 v[40:41], v[48:49], -v[20:21]
	v_add_f64 v[42:43], v[50:51], -v[22:23]
	v_add_f64 v[84:85], v[50:51], v[22:23]
	v_add_f64 v[86:87], v[48:49], v[20:21]
	v_lshlrev_b64 v[46:47], 4, v[46:47]
	v_add_f64 v[60:61], v[52:53], -v[4:5]
	v_add_f64 v[62:63], v[54:55], v[6:7]
	v_add_f64 v[64:65], v[54:55], -v[6:7]
	v_add_f64 v[66:67], v[52:53], v[4:5]
	v_add_f64 v[54:55], v[2:3], v[54:55]
	;; [unrolled: 1-line block ×3, first 2 shown]
	v_add_f64 v[36:37], v[24:25], -v[16:17]
	v_add_f64 v[38:39], v[26:27], -v[18:19]
	;; [unrolled: 1-line block ×5, first 2 shown]
	v_add_f64 v[70:71], v[34:35], v[10:11]
	v_add_f64 v[72:73], v[34:35], -v[10:11]
	v_add_f64 v[74:75], v[32:33], v[8:9]
	v_add_f64 v[76:77], v[30:31], v[14:15]
	;; [unrolled: 1-line block ×3, first 2 shown]
	v_mul_f64 v[92:93], v[40:41], s[10:11]
	v_mul_f64 v[94:95], v[42:43], s[10:11]
	v_add_f64 v[80:81], v[26:27], v[18:19]
	v_add_f64 v[82:83], v[24:25], v[16:17]
	v_mul_f64 v[124:125], v[40:41], s[14:15]
	v_mul_f64 v[126:127], v[42:43], s[14:15]
	;; [unrolled: 1-line block ×6, first 2 shown]
	v_add_f64 v[34:35], v[34:35], v[54:55]
	v_add_f64 v[32:33], v[32:33], v[52:53]
	v_mul_f64 v[110:111], v[64:65], s[16:17]
	v_mul_f64 v[114:115], v[64:65], s[22:23]
	;; [unrolled: 1-line block ×8, first 2 shown]
	s_mov_b32 s11, 0xbfed1bb4
	v_mul_f64 v[122:123], v[58:59], s[16:17]
	v_mul_f64 v[134:135], v[58:59], s[22:23]
	;; [unrolled: 1-line block ×11, first 2 shown]
	v_add_f64 v[30:31], v[30:31], v[34:35]
	v_add_f64 v[28:29], v[28:29], v[32:33]
	v_mul_f64 v[160:161], v[40:41], s[20:21]
	v_mul_f64 v[162:163], v[42:43], s[20:21]
	;; [unrolled: 1-line block ×20, first 2 shown]
	v_add_f64 v[26:27], v[26:27], v[30:31]
	v_add_f64 v[24:25], v[24:25], v[28:29]
	v_mul_f64 v[56:57], v[72:73], s[16:17]
	v_mul_f64 v[68:69], v[68:69], s[10:11]
	;; [unrolled: 1-line block ×3, first 2 shown]
	v_fma_f64 v[164:165], v[62:63], s[12:13], v[100:101]
	v_fma_f64 v[100:101], v[62:63], s[12:13], -v[100:101]
	v_fma_f64 v[166:167], v[62:63], s[8:9], v[102:103]
	v_fma_f64 v[102:103], v[62:63], s[8:9], -v[102:103]
	;; [unrolled: 2-line block ×3, first 2 shown]
	v_fma_f64 v[172:173], v[66:67], s[12:13], -v[108:109]
	v_fma_f64 v[108:109], v[66:67], s[12:13], v[108:109]
	v_fma_f64 v[174:175], v[66:67], s[8:9], -v[110:111]
	v_fma_f64 v[110:111], v[66:67], s[8:9], v[110:111]
	;; [unrolled: 2-line block ×3, first 2 shown]
	v_fma_f64 v[168:169], v[62:63], s[0:1], v[104:105]
	v_fma_f64 v[104:105], v[62:63], s[0:1], -v[104:105]
	v_fma_f64 v[176:177], v[66:67], s[0:1], -v[112:113]
	v_fma_f64 v[112:113], v[66:67], s[0:1], v[112:113]
	v_fma_f64 v[186:187], v[78:79], s[8:9], -v[122:123]
	v_fma_f64 v[188:189], v[80:81], s[4:5], v[88:89]
	;; [unrolled: 2-line block ×21, first 2 shown]
	v_fma_f64 v[236:237], v[84:85], s[6:7], v[40:41]
	v_fma_f64 v[40:41], v[84:85], s[6:7], -v[40:41]
	v_fma_f64 v[84:85], v[80:81], s[0:1], v[36:37]
	v_fma_f64 v[36:37], v[80:81], s[0:1], -v[36:37]
	v_fma_f64 v[80:81], v[78:79], s[12:13], -v[58:59]
	v_fma_f64 v[58:59], v[78:79], s[12:13], v[58:59]
	v_fma_f64 v[78:79], v[82:83], s[0:1], -v[38:39]
	v_fma_f64 v[38:39], v[82:83], s[0:1], v[38:39]
	;; [unrolled: 2-line block ×3, first 2 shown]
	v_fma_f64 v[42:43], v[62:63], s[4:5], v[60:61]
	v_fma_f64 v[60:61], v[62:63], s[4:5], -v[60:61]
	v_fma_f64 v[62:63], v[66:67], s[4:5], -v[64:65]
	v_fma_f64 v[64:65], v[66:67], s[4:5], v[64:65]
	v_add_f64 v[26:27], v[50:51], v[26:27]
	v_add_f64 v[24:25], v[48:49], v[24:25]
	v_fma_f64 v[180:181], v[70:71], s[6:7], v[116:117]
	v_fma_f64 v[182:183], v[74:75], s[6:7], -v[118:119]
	v_fma_f64 v[184:185], v[76:77], s[8:9], v[120:121]
	v_fma_f64 v[116:117], v[70:71], s[6:7], -v[116:117]
	;; [unrolled: 2-line block ×12, first 2 shown]
	v_fma_f64 v[76:77], v[74:75], s[8:9], -v[56:57]
	v_fma_f64 v[56:57], v[74:75], s[8:9], v[56:57]
	v_fma_f64 v[66:67], v[70:71], s[4:5], v[68:69]
	v_fma_f64 v[238:239], v[74:75], s[4:5], -v[72:73]
	v_fma_f64 v[68:69], v[70:71], s[4:5], -v[68:69]
	v_fma_f64 v[70:71], v[74:75], s[4:5], v[72:73]
	v_add_f64 v[48:49], v[2:3], v[164:165]
	v_add_f64 v[50:51], v[0:1], v[172:173]
	;; [unrolled: 1-line block ×110, first 2 shown]
	v_add_co_u32 v44, vcc_lo, v44, v46
	v_add_co_ci_u32_e32 v45, vcc_lo, v45, v47, vcc_lo
	global_store_dwordx4 v[44:45], v[28:31], off offset:144
	global_store_dwordx4 v[44:45], v[24:27], off offset:432
	;; [unrolled: 1-line block ×9, first 2 shown]
	global_store_dwordx4 v[44:45], v[4:7], off
	global_store_dwordx4 v[44:45], v[32:35], off offset:1440
	s_endpgm
	.section	.rodata,"a",@progbits
	.p2align	6, 0x0
	.amdhsa_kernel fft_rtc_back_len99_factors_3_3_11_wgs_220_tpt_11_dp_ip_CI_unitstride_sbrr_dirReg
		.amdhsa_group_segment_fixed_size 0
		.amdhsa_private_segment_fixed_size 0
		.amdhsa_kernarg_size 88
		.amdhsa_user_sgpr_count 6
		.amdhsa_user_sgpr_private_segment_buffer 1
		.amdhsa_user_sgpr_dispatch_ptr 0
		.amdhsa_user_sgpr_queue_ptr 0
		.amdhsa_user_sgpr_kernarg_segment_ptr 1
		.amdhsa_user_sgpr_dispatch_id 0
		.amdhsa_user_sgpr_flat_scratch_init 0
		.amdhsa_user_sgpr_private_segment_size 0
		.amdhsa_wavefront_size32 1
		.amdhsa_uses_dynamic_stack 0
		.amdhsa_system_sgpr_private_segment_wavefront_offset 0
		.amdhsa_system_sgpr_workgroup_id_x 1
		.amdhsa_system_sgpr_workgroup_id_y 0
		.amdhsa_system_sgpr_workgroup_id_z 0
		.amdhsa_system_sgpr_workgroup_info 0
		.amdhsa_system_vgpr_workitem_id 0
		.amdhsa_next_free_vgpr 240
		.amdhsa_next_free_sgpr 28
		.amdhsa_reserve_vcc 1
		.amdhsa_reserve_flat_scratch 0
		.amdhsa_float_round_mode_32 0
		.amdhsa_float_round_mode_16_64 0
		.amdhsa_float_denorm_mode_32 3
		.amdhsa_float_denorm_mode_16_64 3
		.amdhsa_dx10_clamp 1
		.amdhsa_ieee_mode 1
		.amdhsa_fp16_overflow 0
		.amdhsa_workgroup_processor_mode 1
		.amdhsa_memory_ordered 1
		.amdhsa_forward_progress 0
		.amdhsa_shared_vgpr_count 0
		.amdhsa_exception_fp_ieee_invalid_op 0
		.amdhsa_exception_fp_denorm_src 0
		.amdhsa_exception_fp_ieee_div_zero 0
		.amdhsa_exception_fp_ieee_overflow 0
		.amdhsa_exception_fp_ieee_underflow 0
		.amdhsa_exception_fp_ieee_inexact 0
		.amdhsa_exception_int_div_zero 0
	.end_amdhsa_kernel
	.text
.Lfunc_end0:
	.size	fft_rtc_back_len99_factors_3_3_11_wgs_220_tpt_11_dp_ip_CI_unitstride_sbrr_dirReg, .Lfunc_end0-fft_rtc_back_len99_factors_3_3_11_wgs_220_tpt_11_dp_ip_CI_unitstride_sbrr_dirReg
                                        ; -- End function
	.section	.AMDGPU.csdata,"",@progbits
; Kernel info:
; codeLenInByte = 6112
; NumSgprs: 30
; NumVgprs: 240
; ScratchSize: 0
; MemoryBound: 1
; FloatMode: 240
; IeeeMode: 1
; LDSByteSize: 0 bytes/workgroup (compile time only)
; SGPRBlocks: 3
; VGPRBlocks: 29
; NumSGPRsForWavesPerEU: 30
; NumVGPRsForWavesPerEU: 240
; Occupancy: 4
; WaveLimiterHint : 1
; COMPUTE_PGM_RSRC2:SCRATCH_EN: 0
; COMPUTE_PGM_RSRC2:USER_SGPR: 6
; COMPUTE_PGM_RSRC2:TRAP_HANDLER: 0
; COMPUTE_PGM_RSRC2:TGID_X_EN: 1
; COMPUTE_PGM_RSRC2:TGID_Y_EN: 0
; COMPUTE_PGM_RSRC2:TGID_Z_EN: 0
; COMPUTE_PGM_RSRC2:TIDIG_COMP_CNT: 0
	.text
	.p2alignl 6, 3214868480
	.fill 48, 4, 3214868480
	.type	__hip_cuid_7aff0a4ad502b431,@object ; @__hip_cuid_7aff0a4ad502b431
	.section	.bss,"aw",@nobits
	.globl	__hip_cuid_7aff0a4ad502b431
__hip_cuid_7aff0a4ad502b431:
	.byte	0                               ; 0x0
	.size	__hip_cuid_7aff0a4ad502b431, 1

	.ident	"AMD clang version 19.0.0git (https://github.com/RadeonOpenCompute/llvm-project roc-6.4.0 25133 c7fe45cf4b819c5991fe208aaa96edf142730f1d)"
	.section	".note.GNU-stack","",@progbits
	.addrsig
	.addrsig_sym __hip_cuid_7aff0a4ad502b431
	.amdgpu_metadata
---
amdhsa.kernels:
  - .args:
      - .actual_access:  read_only
        .address_space:  global
        .offset:         0
        .size:           8
        .value_kind:     global_buffer
      - .offset:         8
        .size:           8
        .value_kind:     by_value
      - .actual_access:  read_only
        .address_space:  global
        .offset:         16
        .size:           8
        .value_kind:     global_buffer
      - .actual_access:  read_only
        .address_space:  global
        .offset:         24
        .size:           8
        .value_kind:     global_buffer
      - .offset:         32
        .size:           8
        .value_kind:     by_value
      - .actual_access:  read_only
        .address_space:  global
        .offset:         40
        .size:           8
        .value_kind:     global_buffer
      - .actual_access:  read_only
        .address_space:  global
        .offset:         48
        .size:           8
        .value_kind:     global_buffer
      - .offset:         56
        .size:           4
        .value_kind:     by_value
      - .actual_access:  read_only
        .address_space:  global
        .offset:         64
        .size:           8
        .value_kind:     global_buffer
      - .actual_access:  read_only
        .address_space:  global
        .offset:         72
        .size:           8
        .value_kind:     global_buffer
      - .address_space:  global
        .offset:         80
        .size:           8
        .value_kind:     global_buffer
    .group_segment_fixed_size: 0
    .kernarg_segment_align: 8
    .kernarg_segment_size: 88
    .language:       OpenCL C
    .language_version:
      - 2
      - 0
    .max_flat_workgroup_size: 220
    .name:           fft_rtc_back_len99_factors_3_3_11_wgs_220_tpt_11_dp_ip_CI_unitstride_sbrr_dirReg
    .private_segment_fixed_size: 0
    .sgpr_count:     30
    .sgpr_spill_count: 0
    .symbol:         fft_rtc_back_len99_factors_3_3_11_wgs_220_tpt_11_dp_ip_CI_unitstride_sbrr_dirReg.kd
    .uniform_work_group_size: 1
    .uses_dynamic_stack: false
    .vgpr_count:     240
    .vgpr_spill_count: 0
    .wavefront_size: 32
    .workgroup_processor_mode: 1
amdhsa.target:   amdgcn-amd-amdhsa--gfx1030
amdhsa.version:
  - 1
  - 2
...

	.end_amdgpu_metadata
